;; amdgpu-corpus repo=zjin-lcf/HeCBench kind=compiled arch=gfx1100 opt=O3
	.text
	.amdgcn_target "amdgcn-amd-amdhsa--gfx1100"
	.amdhsa_code_object_version 6
	.protected	_Z8findminsiPKiS0_PVh   ; -- Begin function _Z8findminsiPKiS0_PVh
	.globl	_Z8findminsiPKiS0_PVh
	.p2align	8
	.type	_Z8findminsiPKiS0_PVh,@function
_Z8findminsiPKiS0_PVh:                  ; @_Z8findminsiPKiS0_PVh
; %bb.0:
	s_clause 0x3
	s_load_b32 s3, s[0:1], 0x0
	s_load_b32 s2, s[0:1], 0x20
	s_load_b64 s[8:9], s[0:1], 0x18
	s_load_b128 s[4:7], s[0:1], 0x8
	v_lshl_add_u32 v12, s15, 8, v0
	v_dual_mov_b32 v13, 0 :: v_dual_mov_b32 v14, 0xfe
	s_mov_b32 s11, 0
	s_waitcnt lgkmcnt(0)
	s_delay_alu instid0(VALU_DEP_2)
	v_cmp_gt_i32_e32 vcc_lo, s3, v12
	s_lshl_b32 s10, s2, 8
	s_branch .LBB0_3
.LBB0_1:                                ;   in Loop: Header=BB0_3 Depth=1
	s_or_b32 exec_lo, exec_lo, s13
.LBB0_2:                                ;   in Loop: Header=BB0_3 Depth=1
	s_delay_alu instid0(SALU_CYCLE_1) | instskip(NEXT) | instid1(VALU_DEP_1)
	s_or_b32 exec_lo, exec_lo, s12
	v_cmp_eq_u32_e64 s0, 0, v15
	s_delay_alu instid0(VALU_DEP_1) | instskip(NEXT) | instid1(SALU_CYCLE_1)
	s_or_b32 s11, s0, s11
	s_and_not1_b32 exec_lo, exec_lo, s11
	s_cbranch_execz .LBB0_22
.LBB0_3:                                ; =>This Loop Header: Depth=1
                                        ;     Child Loop BB0_7 Depth 2
                                        ;       Child Loop BB0_11 Depth 3
                                        ;       Child Loop BB0_17 Depth 3
	v_mov_b32_e32 v15, 0
	s_and_saveexec_b32 s12, vcc_lo
	s_cbranch_execz .LBB0_2
; %bb.4:                                ;   in Loop: Header=BB0_3 Depth=1
	v_dual_mov_b32 v15, 0 :: v_dual_mov_b32 v0, v12
	s_mov_b32 s13, 0
	s_branch .LBB0_7
.LBB0_5:                                ;   in Loop: Header=BB0_7 Depth=2
	s_or_b32 exec_lo, exec_lo, s0
	v_mov_b32_e32 v15, v10
.LBB0_6:                                ;   in Loop: Header=BB0_7 Depth=2
	s_or_b32 exec_lo, exec_lo, s14
	v_add_nc_u32_e32 v0, s10, v0
	s_delay_alu instid0(VALU_DEP_1) | instskip(NEXT) | instid1(VALU_DEP_1)
	v_cmp_le_i32_e64 s0, s3, v0
	s_or_b32 s13, s0, s13
	s_delay_alu instid0(SALU_CYCLE_1)
	s_and_not1_b32 exec_lo, exec_lo, s13
	s_cbranch_execz .LBB0_1
.LBB0_7:                                ;   Parent Loop BB0_3 Depth=1
                                        ; =>  This Loop Header: Depth=2
                                        ;       Child Loop BB0_11 Depth 3
                                        ;       Child Loop BB0_17 Depth 3
	s_delay_alu instid0(VALU_DEP_1) | instskip(SKIP_2) | instid1(VALU_DEP_2)
	v_ashrrev_i32_e32 v1, 31, v0
	v_add_co_u32 v2, s0, s8, v0
	s_mov_b32 s14, exec_lo
	v_add_co_ci_u32_e64 v3, s0, s9, v1, s0
	flat_load_u8 v8, v[2:3] glc dlc
	s_waitcnt vmcnt(0) lgkmcnt(0)
	v_and_b32_e32 v4, 1, v8
	s_delay_alu instid0(VALU_DEP_1)
	v_cmpx_eq_u32_e32 1, v4
	s_cbranch_execz .LBB0_6
; %bb.8:                                ;   in Loop: Header=BB0_7 Depth=2
	v_lshlrev_b64 v[4:5], 2, v[0:1]
	s_mov_b32 s1, -1
	s_mov_b32 s15, exec_lo
                                        ; implicit-def: $vgpr10
	s_delay_alu instid0(VALU_DEP_1) | instskip(NEXT) | instid1(VALU_DEP_1)
	v_add_co_u32 v4, s0, s4, v4
	v_add_co_ci_u32_e64 v5, s0, s5, v5, s0
	global_load_b64 v[4:5], v[4:5], off
	s_waitcnt vmcnt(0)
	v_cmpx_lt_i32_e64 v4, v5
	s_cbranch_execz .LBB0_20
; %bb.9:                                ;   in Loop: Header=BB0_7 Depth=2
	v_ashrrev_i32_e32 v7, 31, v4
	v_dual_mov_b32 v6, v4 :: v_dual_and_b32 v1, 0xff, v8
	v_mov_b32_e32 v16, v4
	s_mov_b32 s16, 0
                                        ; implicit-def: $sgpr2
	s_delay_alu instid0(VALU_DEP_2) | instskip(NEXT) | instid1(VALU_DEP_1)
	v_lshlrev_b64 v[6:7], 2, v[6:7]
	v_add_co_u32 v6, s0, s6, v6
	s_delay_alu instid0(VALU_DEP_1) | instskip(NEXT) | instid1(VALU_DEP_1)
	v_add_co_ci_u32_e64 v7, s0, s7, v7, s0
	v_dual_mov_b32 v9, v7 :: v_dual_mov_b32 v8, v6
	s_branch .LBB0_11
.LBB0_10:                               ;   in Loop: Header=BB0_11 Depth=3
	s_or_b32 exec_lo, exec_lo, s20
	s_xor_b32 s1, s18, -1
	s_and_b32 s0, exec_lo, s0
	v_mov_b32_e32 v10, s17
	s_or_b32 s16, s0, s16
	s_and_not1_b32 s0, s2, exec_lo
	s_and_b32 s1, s1, exec_lo
	s_delay_alu instid0(SALU_CYCLE_1)
	s_or_b32 s2, s0, s1
	s_and_not1_b32 exec_lo, exec_lo, s16
	s_cbranch_execz .LBB0_15
.LBB0_11:                               ;   Parent Loop BB0_3 Depth=1
                                        ;     Parent Loop BB0_7 Depth=2
                                        ; =>    This Inner Loop Header: Depth=3
	global_load_b32 v17, v[8:9], off
	s_mov_b32 s20, exec_lo
                                        ; implicit-def: $sgpr18
                                        ; implicit-def: $sgpr17
	s_waitcnt vmcnt(0)
	v_ashrrev_i32_e32 v11, 31, v17
	v_add_co_u32 v10, s0, s8, v17
	s_delay_alu instid0(VALU_DEP_1)
	v_add_co_ci_u32_e64 v11, s0, s9, v11, s0
	flat_load_u8 v18, v[10:11] glc dlc
	s_waitcnt vmcnt(0) lgkmcnt(0)
	v_cmp_gt_u16_e64 s19, v1, v18
	v_cmpx_le_u16_e64 v1, v18
	s_cbranch_execz .LBB0_13
; %bb.12:                               ;   in Loop: Header=BB0_11 Depth=3
	flat_load_u8 v10, v[10:11] glc dlc
	s_waitcnt vmcnt(0)
	v_cmp_gt_i32_e64 s0, v0, v17
	s_mov_b32 s17, 1
	s_mov_b32 s18, -1
	s_waitcnt lgkmcnt(0)
	v_cmp_eq_u16_e64 s1, v1, v10
	s_delay_alu instid0(VALU_DEP_1) | instskip(SKIP_2) | instid1(SALU_CYCLE_1)
	s_and_b32 s0, s0, s1
	s_and_not1_b32 s1, s19, exec_lo
	s_and_b32 s0, s0, exec_lo
	s_or_b32 s19, s1, s0
.LBB0_13:                               ;   in Loop: Header=BB0_11 Depth=3
	s_or_b32 exec_lo, exec_lo, s20
	s_mov_b32 s0, -1
	s_and_saveexec_b32 s20, s19
	s_cbranch_execz .LBB0_10
; %bb.14:                               ;   in Loop: Header=BB0_11 Depth=3
	v_add_nc_u32_e32 v16, 1, v16
	v_add_co_u32 v8, s1, v8, 4
	s_delay_alu instid0(VALU_DEP_1) | instskip(NEXT) | instid1(VALU_DEP_3)
	v_add_co_ci_u32_e64 v9, s1, 0, v9, s1
	v_cmp_ge_i32_e64 s0, v16, v5
	s_and_not1_b32 s18, s18, exec_lo
	s_delay_alu instid0(VALU_DEP_1)
	s_or_not1_b32 s0, s0, exec_lo
	s_branch .LBB0_10
.LBB0_15:                               ;   in Loop: Header=BB0_7 Depth=2
	s_or_b32 exec_lo, exec_lo, s16
	s_mov_b32 s0, 0
	s_and_saveexec_b32 s1, s2
	s_delay_alu instid0(SALU_CYCLE_1)
	s_xor_b32 s16, exec_lo, s1
	s_cbranch_execz .LBB0_19
; %bb.16:                               ;   in Loop: Header=BB0_7 Depth=2
	s_mov_b32 s17, 0
	.p2align	6
.LBB0_17:                               ;   Parent Loop BB0_3 Depth=1
                                        ;     Parent Loop BB0_7 Depth=2
                                        ; =>    This Inner Loop Header: Depth=3
	global_load_b32 v1, v[6:7], off
	v_add_nc_u32_e32 v4, 1, v4
	v_add_co_u32 v6, s0, v6, 4
	s_delay_alu instid0(VALU_DEP_1) | instskip(NEXT) | instid1(VALU_DEP_3)
	v_add_co_ci_u32_e64 v7, s0, 0, v7, s0
	v_cmp_ge_i32_e64 s1, v4, v5
	s_delay_alu instid0(VALU_DEP_1) | instskip(SKIP_3) | instid1(VALU_DEP_1)
	s_or_b32 s17, s1, s17
	s_waitcnt vmcnt(0)
	v_ashrrev_i32_e32 v9, 31, v1
	v_add_co_u32 v8, s2, s8, v1
	v_add_co_ci_u32_e64 v9, s2, s9, v9, s2
	flat_store_b8 v[8:9], v13 dlc
	s_waitcnt_vscnt null, 0x0
	s_and_not1_b32 exec_lo, exec_lo, s17
	s_cbranch_execnz .LBB0_17
; %bb.18:                               ;   in Loop: Header=BB0_7 Depth=2
	s_or_b32 exec_lo, exec_lo, s17
	s_delay_alu instid0(SALU_CYCLE_1)
	s_mov_b32 s0, exec_lo
                                        ; implicit-def: $vgpr10
.LBB0_19:                               ;   in Loop: Header=BB0_7 Depth=2
	s_or_b32 exec_lo, exec_lo, s16
	s_delay_alu instid0(SALU_CYCLE_1)
	s_or_not1_b32 s1, s0, exec_lo
.LBB0_20:                               ;   in Loop: Header=BB0_7 Depth=2
	s_or_b32 exec_lo, exec_lo, s15
	s_and_saveexec_b32 s0, s1
	s_cbranch_execz .LBB0_5
; %bb.21:                               ;   in Loop: Header=BB0_7 Depth=2
	v_mov_b32_e32 v10, v15
	flat_store_b8 v[2:3], v14 dlc
	s_waitcnt_vscnt null, 0x0
	s_branch .LBB0_5
.LBB0_22:
	s_endpgm
	.section	.rodata,"a",@progbits
	.p2align	6, 0x0
	.amdhsa_kernel _Z8findminsiPKiS0_PVh
		.amdhsa_group_segment_fixed_size 0
		.amdhsa_private_segment_fixed_size 0
		.amdhsa_kernarg_size 288
		.amdhsa_user_sgpr_count 15
		.amdhsa_user_sgpr_dispatch_ptr 0
		.amdhsa_user_sgpr_queue_ptr 0
		.amdhsa_user_sgpr_kernarg_segment_ptr 1
		.amdhsa_user_sgpr_dispatch_id 0
		.amdhsa_user_sgpr_private_segment_size 0
		.amdhsa_wavefront_size32 1
		.amdhsa_uses_dynamic_stack 0
		.amdhsa_enable_private_segment 0
		.amdhsa_system_sgpr_workgroup_id_x 1
		.amdhsa_system_sgpr_workgroup_id_y 0
		.amdhsa_system_sgpr_workgroup_id_z 0
		.amdhsa_system_sgpr_workgroup_info 0
		.amdhsa_system_vgpr_workitem_id 0
		.amdhsa_next_free_vgpr 19
		.amdhsa_next_free_sgpr 21
		.amdhsa_reserve_vcc 1
		.amdhsa_float_round_mode_32 0
		.amdhsa_float_round_mode_16_64 0
		.amdhsa_float_denorm_mode_32 3
		.amdhsa_float_denorm_mode_16_64 3
		.amdhsa_dx10_clamp 1
		.amdhsa_ieee_mode 1
		.amdhsa_fp16_overflow 0
		.amdhsa_workgroup_processor_mode 1
		.amdhsa_memory_ordered 1
		.amdhsa_forward_progress 0
		.amdhsa_shared_vgpr_count 0
		.amdhsa_exception_fp_ieee_invalid_op 0
		.amdhsa_exception_fp_denorm_src 0
		.amdhsa_exception_fp_ieee_div_zero 0
		.amdhsa_exception_fp_ieee_overflow 0
		.amdhsa_exception_fp_ieee_underflow 0
		.amdhsa_exception_fp_ieee_inexact 0
		.amdhsa_exception_int_div_zero 0
	.end_amdhsa_kernel
	.text
.Lfunc_end0:
	.size	_Z8findminsiPKiS0_PVh, .Lfunc_end0-_Z8findminsiPKiS0_PVh
                                        ; -- End function
	.section	.AMDGPU.csdata,"",@progbits
; Kernel info:
; codeLenInByte = 792
; NumSgprs: 23
; NumVgprs: 19
; ScratchSize: 0
; MemoryBound: 0
; FloatMode: 240
; IeeeMode: 1
; LDSByteSize: 0 bytes/workgroup (compile time only)
; SGPRBlocks: 2
; VGPRBlocks: 2
; NumSGPRsForWavesPerEU: 23
; NumVGPRsForWavesPerEU: 19
; Occupancy: 16
; WaveLimiterHint : 1
; COMPUTE_PGM_RSRC2:SCRATCH_EN: 0
; COMPUTE_PGM_RSRC2:USER_SGPR: 15
; COMPUTE_PGM_RSRC2:TRAP_HANDLER: 0
; COMPUTE_PGM_RSRC2:TGID_X_EN: 1
; COMPUTE_PGM_RSRC2:TGID_Y_EN: 0
; COMPUTE_PGM_RSRC2:TGID_Z_EN: 0
; COMPUTE_PGM_RSRC2:TIDIG_COMP_CNT: 0
	.text
	.protected	_Z4initiiPKiPh          ; -- Begin function _Z4initiiPKiPh
	.globl	_Z4initiiPKiPh
	.p2align	8
	.type	_Z4initiiPKiPh,@function
_Z4initiiPKiPh:                         ; @_Z4initiiPKiPh
; %bb.0:
	s_load_b64 s[2:3], s[0:1], 0x0
	v_lshl_add_u32 v0, s15, 8, v0
	s_mov_b32 s4, exec_lo
	s_waitcnt lgkmcnt(0)
	s_delay_alu instid0(VALU_DEP_1)
	v_cmpx_gt_i32_e64 s2, v0
	s_cbranch_execz .LBB1_5
; %bb.1:
	v_cvt_f32_i32_e32 v2, s3
	v_cvt_f32_i32_e32 v3, s2
	s_clause 0x1
	s_load_b32 s3, s[0:1], 0x18
	s_load_b128 s[8:11], s[0:1], 0x8
	s_mov_b32 s1, 0
	v_div_scale_f32 v1, null, v3, v3, v2
	v_div_scale_f32 v6, vcc_lo, v2, v3, v2
	s_delay_alu instid0(VALU_DEP_2) | instskip(SKIP_4) | instid1(SALU_CYCLE_1)
	v_rcp_f32_e32 v4, v1
	s_waitcnt_depctr 0xfff
	v_fma_f32 v5, -v1, v4, 1.0
	s_waitcnt lgkmcnt(0)
	s_lshl_b32 s4, s3, 8
	s_ashr_i32 s5, s4, 31
	s_delay_alu instid0(VALU_DEP_1) | instskip(SKIP_1) | instid1(VALU_DEP_1)
	v_fmac_f32_e32 v4, v5, v4
	s_lshl_b64 s[6:7], s[4:5], 2
	v_mul_f32_e32 v5, v6, v4
	s_delay_alu instid0(VALU_DEP_1) | instskip(NEXT) | instid1(VALU_DEP_1)
	v_fma_f32 v7, -v1, v5, v6
	v_fmac_f32_e32 v5, v7, v4
	s_delay_alu instid0(VALU_DEP_1) | instskip(SKIP_1) | instid1(VALU_DEP_2)
	v_fma_f32 v6, -v1, v5, v6
	v_ashrrev_i32_e32 v1, 31, v0
	v_div_fmas_f32 v6, v6, v4, v5
	s_delay_alu instid0(VALU_DEP_2) | instskip(NEXT) | instid1(VALU_DEP_2)
	v_lshlrev_b64 v[4:5], 2, v[0:1]
	v_div_fixup_f32 v6, v6, v3, v2
	v_add_co_u32 v2, vcc_lo, s10, v0
	v_add_co_ci_u32_e32 v3, vcc_lo, s11, v1, vcc_lo
	s_delay_alu instid0(VALU_DEP_3)
	v_mul_f32_e32 v1, 0x42fc0000, v6
	v_add_co_u32 v4, vcc_lo, s8, v4
	v_add_co_ci_u32_e32 v5, vcc_lo, s9, v5, vcc_lo
	s_branch .LBB1_3
.LBB1_2:                                ;   in Loop: Header=BB1_3 Depth=1
	s_or_b32 exec_lo, exec_lo, s0
	v_add_nc_u32_e32 v0, s4, v0
	global_store_b8 v[2:3], v8, off
	v_add_co_u32 v2, vcc_lo, v2, s4
	v_add_co_ci_u32_e32 v3, vcc_lo, s5, v3, vcc_lo
	v_cmp_le_i32_e32 vcc_lo, s2, v0
	v_add_co_u32 v4, s0, v4, s6
	s_delay_alu instid0(VALU_DEP_1) | instskip(SKIP_1) | instid1(SALU_CYCLE_1)
	v_add_co_ci_u32_e64 v5, s0, s7, v5, s0
	s_or_b32 s1, vcc_lo, s1
	s_and_not1_b32 exec_lo, exec_lo, s1
	s_cbranch_execz .LBB1_5
.LBB1_3:                                ; =>This Inner Loop Header: Depth=1
	global_load_b64 v[7:8], v[4:5], off
	s_mov_b32 s0, exec_lo
	s_waitcnt vmcnt(0)
	v_sub_nc_u32_e32 v7, v8, v7
	v_mov_b32_e32 v8, 0xfe
	s_delay_alu instid0(VALU_DEP_2)
	v_cmpx_lt_i32_e32 0, v7
	s_cbranch_execz .LBB1_2
; %bb.4:                                ;   in Loop: Header=BB1_3 Depth=1
	v_lshrrev_b32_e32 v8, 16, v0
	v_cvt_f32_u32_e32 v7, v7
	s_delay_alu instid0(VALU_DEP_2) | instskip(NEXT) | instid1(VALU_DEP_1)
	v_xor_b32_e32 v8, v8, v0
	v_mul_lo_u32 v8, 0x45d9f3b, v8
	s_delay_alu instid0(VALU_DEP_1) | instskip(NEXT) | instid1(VALU_DEP_1)
	v_lshrrev_b32_e32 v9, 16, v8
	v_xor_b32_e32 v8, v9, v8
	s_delay_alu instid0(VALU_DEP_1) | instskip(NEXT) | instid1(VALU_DEP_1)
	v_mul_lo_u32 v8, 0x45d9f3b, v8
	v_lshrrev_b32_e32 v9, 16, v8
	s_delay_alu instid0(VALU_DEP_1) | instskip(NEXT) | instid1(VALU_DEP_1)
	v_xor_b32_e32 v8, v9, v8
	v_cvt_f32_u32_e32 v8, v8
	s_delay_alu instid0(VALU_DEP_1) | instskip(NEXT) | instid1(VALU_DEP_1)
	v_fmac_f32_e32 v7, 0xaf800000, v8
	v_add_f32_e32 v7, v6, v7
	s_delay_alu instid0(VALU_DEP_1) | instskip(NEXT) | instid1(VALU_DEP_1)
	v_div_scale_f32 v8, null, v7, v7, v1
	v_rcp_f32_e32 v9, v8
	s_waitcnt_depctr 0xfff
	v_fma_f32 v10, -v8, v9, 1.0
	s_delay_alu instid0(VALU_DEP_1) | instskip(SKIP_1) | instid1(VALU_DEP_1)
	v_fmac_f32_e32 v9, v10, v9
	v_div_scale_f32 v10, vcc_lo, v1, v7, v1
	v_mul_f32_e32 v11, v10, v9
	s_delay_alu instid0(VALU_DEP_1) | instskip(NEXT) | instid1(VALU_DEP_1)
	v_fma_f32 v12, -v8, v11, v10
	v_fmac_f32_e32 v11, v12, v9
	s_delay_alu instid0(VALU_DEP_1) | instskip(NEXT) | instid1(VALU_DEP_1)
	v_fma_f32 v8, -v8, v11, v10
	v_div_fmas_f32 v8, v8, v9, v11
	s_delay_alu instid0(VALU_DEP_1) | instskip(NEXT) | instid1(VALU_DEP_1)
	v_div_fixup_f32 v7, v8, v7, v1
	v_cvt_i32_f32_e32 v7, v7
	s_delay_alu instid0(VALU_DEP_1) | instskip(NEXT) | instid1(VALU_DEP_1)
	v_lshlrev_b16 v7, 1, v7
	v_or_b32_e32 v8, 1, v7
	s_branch .LBB1_2
.LBB1_5:
	s_nop 0
	s_sendmsg sendmsg(MSG_DEALLOC_VGPRS)
	s_endpgm
	.section	.rodata,"a",@progbits
	.p2align	6, 0x0
	.amdhsa_kernel _Z4initiiPKiPh
		.amdhsa_group_segment_fixed_size 0
		.amdhsa_private_segment_fixed_size 0
		.amdhsa_kernarg_size 280
		.amdhsa_user_sgpr_count 15
		.amdhsa_user_sgpr_dispatch_ptr 0
		.amdhsa_user_sgpr_queue_ptr 0
		.amdhsa_user_sgpr_kernarg_segment_ptr 1
		.amdhsa_user_sgpr_dispatch_id 0
		.amdhsa_user_sgpr_private_segment_size 0
		.amdhsa_wavefront_size32 1
		.amdhsa_uses_dynamic_stack 0
		.amdhsa_enable_private_segment 0
		.amdhsa_system_sgpr_workgroup_id_x 1
		.amdhsa_system_sgpr_workgroup_id_y 0
		.amdhsa_system_sgpr_workgroup_id_z 0
		.amdhsa_system_sgpr_workgroup_info 0
		.amdhsa_system_vgpr_workitem_id 0
		.amdhsa_next_free_vgpr 13
		.amdhsa_next_free_sgpr 16
		.amdhsa_reserve_vcc 1
		.amdhsa_float_round_mode_32 0
		.amdhsa_float_round_mode_16_64 0
		.amdhsa_float_denorm_mode_32 3
		.amdhsa_float_denorm_mode_16_64 3
		.amdhsa_dx10_clamp 1
		.amdhsa_ieee_mode 1
		.amdhsa_fp16_overflow 0
		.amdhsa_workgroup_processor_mode 1
		.amdhsa_memory_ordered 1
		.amdhsa_forward_progress 0
		.amdhsa_shared_vgpr_count 0
		.amdhsa_exception_fp_ieee_invalid_op 0
		.amdhsa_exception_fp_denorm_src 0
		.amdhsa_exception_fp_ieee_div_zero 0
		.amdhsa_exception_fp_ieee_overflow 0
		.amdhsa_exception_fp_ieee_underflow 0
		.amdhsa_exception_fp_ieee_inexact 0
		.amdhsa_exception_int_div_zero 0
	.end_amdhsa_kernel
	.text
.Lfunc_end1:
	.size	_Z4initiiPKiPh, .Lfunc_end1-_Z4initiiPKiPh
                                        ; -- End function
	.section	.AMDGPU.csdata,"",@progbits
; Kernel info:
; codeLenInByte = 560
; NumSgprs: 18
; NumVgprs: 13
; ScratchSize: 0
; MemoryBound: 0
; FloatMode: 240
; IeeeMode: 1
; LDSByteSize: 0 bytes/workgroup (compile time only)
; SGPRBlocks: 2
; VGPRBlocks: 1
; NumSGPRsForWavesPerEU: 18
; NumVGPRsForWavesPerEU: 13
; Occupancy: 16
; WaveLimiterHint : 0
; COMPUTE_PGM_RSRC2:SCRATCH_EN: 0
; COMPUTE_PGM_RSRC2:USER_SGPR: 15
; COMPUTE_PGM_RSRC2:TRAP_HANDLER: 0
; COMPUTE_PGM_RSRC2:TGID_X_EN: 1
; COMPUTE_PGM_RSRC2:TGID_Y_EN: 0
; COMPUTE_PGM_RSRC2:TGID_Z_EN: 0
; COMPUTE_PGM_RSRC2:TIDIG_COMP_CNT: 0
	.text
	.p2alignl 7, 3214868480
	.fill 96, 4, 3214868480
	.type	__hip_cuid_b7617166c3ce620d,@object ; @__hip_cuid_b7617166c3ce620d
	.section	.bss,"aw",@nobits
	.globl	__hip_cuid_b7617166c3ce620d
__hip_cuid_b7617166c3ce620d:
	.byte	0                               ; 0x0
	.size	__hip_cuid_b7617166c3ce620d, 1

	.ident	"AMD clang version 19.0.0git (https://github.com/RadeonOpenCompute/llvm-project roc-6.4.0 25133 c7fe45cf4b819c5991fe208aaa96edf142730f1d)"
	.section	".note.GNU-stack","",@progbits
	.addrsig
	.addrsig_sym __hip_cuid_b7617166c3ce620d
	.amdgpu_metadata
---
amdhsa.kernels:
  - .args:
      - .offset:         0
        .size:           4
        .value_kind:     by_value
      - .actual_access:  read_only
        .address_space:  global
        .offset:         8
        .size:           8
        .value_kind:     global_buffer
      - .actual_access:  read_only
        .address_space:  global
        .offset:         16
        .size:           8
        .value_kind:     global_buffer
      - .address_space:  global
        .offset:         24
        .size:           8
        .value_kind:     global_buffer
      - .offset:         32
        .size:           4
        .value_kind:     hidden_block_count_x
      - .offset:         36
        .size:           4
        .value_kind:     hidden_block_count_y
      - .offset:         40
        .size:           4
        .value_kind:     hidden_block_count_z
      - .offset:         44
        .size:           2
        .value_kind:     hidden_group_size_x
      - .offset:         46
        .size:           2
        .value_kind:     hidden_group_size_y
      - .offset:         48
        .size:           2
        .value_kind:     hidden_group_size_z
      - .offset:         50
        .size:           2
        .value_kind:     hidden_remainder_x
      - .offset:         52
        .size:           2
        .value_kind:     hidden_remainder_y
      - .offset:         54
        .size:           2
        .value_kind:     hidden_remainder_z
      - .offset:         72
        .size:           8
        .value_kind:     hidden_global_offset_x
      - .offset:         80
        .size:           8
        .value_kind:     hidden_global_offset_y
      - .offset:         88
        .size:           8
        .value_kind:     hidden_global_offset_z
      - .offset:         96
        .size:           2
        .value_kind:     hidden_grid_dims
    .group_segment_fixed_size: 0
    .kernarg_segment_align: 8
    .kernarg_segment_size: 288
    .language:       OpenCL C
    .language_version:
      - 2
      - 0
    .max_flat_workgroup_size: 1024
    .name:           _Z8findminsiPKiS0_PVh
    .private_segment_fixed_size: 0
    .sgpr_count:     23
    .sgpr_spill_count: 0
    .symbol:         _Z8findminsiPKiS0_PVh.kd
    .uniform_work_group_size: 1
    .uses_dynamic_stack: false
    .vgpr_count:     19
    .vgpr_spill_count: 0
    .wavefront_size: 32
    .workgroup_processor_mode: 1
  - .args:
      - .offset:         0
        .size:           4
        .value_kind:     by_value
      - .offset:         4
        .size:           4
        .value_kind:     by_value
      - .actual_access:  read_only
        .address_space:  global
        .offset:         8
        .size:           8
        .value_kind:     global_buffer
      - .actual_access:  write_only
        .address_space:  global
        .offset:         16
        .size:           8
        .value_kind:     global_buffer
      - .offset:         24
        .size:           4
        .value_kind:     hidden_block_count_x
      - .offset:         28
        .size:           4
        .value_kind:     hidden_block_count_y
      - .offset:         32
        .size:           4
        .value_kind:     hidden_block_count_z
      - .offset:         36
        .size:           2
        .value_kind:     hidden_group_size_x
      - .offset:         38
        .size:           2
        .value_kind:     hidden_group_size_y
      - .offset:         40
        .size:           2
        .value_kind:     hidden_group_size_z
      - .offset:         42
        .size:           2
        .value_kind:     hidden_remainder_x
      - .offset:         44
        .size:           2
        .value_kind:     hidden_remainder_y
      - .offset:         46
        .size:           2
        .value_kind:     hidden_remainder_z
      - .offset:         64
        .size:           8
        .value_kind:     hidden_global_offset_x
      - .offset:         72
        .size:           8
        .value_kind:     hidden_global_offset_y
      - .offset:         80
        .size:           8
        .value_kind:     hidden_global_offset_z
      - .offset:         88
        .size:           2
        .value_kind:     hidden_grid_dims
    .group_segment_fixed_size: 0
    .kernarg_segment_align: 8
    .kernarg_segment_size: 280
    .language:       OpenCL C
    .language_version:
      - 2
      - 0
    .max_flat_workgroup_size: 1024
    .name:           _Z4initiiPKiPh
    .private_segment_fixed_size: 0
    .sgpr_count:     18
    .sgpr_spill_count: 0
    .symbol:         _Z4initiiPKiPh.kd
    .uniform_work_group_size: 1
    .uses_dynamic_stack: false
    .vgpr_count:     13
    .vgpr_spill_count: 0
    .wavefront_size: 32
    .workgroup_processor_mode: 1
amdhsa.target:   amdgcn-amd-amdhsa--gfx1100
amdhsa.version:
  - 1
  - 2
...

	.end_amdgpu_metadata
